;; amdgpu-corpus repo=ROCm/rocFFT kind=compiled arch=gfx906 opt=O3
	.text
	.amdgcn_target "amdgcn-amd-amdhsa--gfx906"
	.amdhsa_code_object_version 6
	.protected	fft_rtc_back_len1848_factors_3_11_7_4_2_wgs_231_tpt_231_halfLds_half_op_CI_CI_unitstride_sbrr_R2C_dirReg ; -- Begin function fft_rtc_back_len1848_factors_3_11_7_4_2_wgs_231_tpt_231_halfLds_half_op_CI_CI_unitstride_sbrr_R2C_dirReg
	.globl	fft_rtc_back_len1848_factors_3_11_7_4_2_wgs_231_tpt_231_halfLds_half_op_CI_CI_unitstride_sbrr_R2C_dirReg
	.p2align	8
	.type	fft_rtc_back_len1848_factors_3_11_7_4_2_wgs_231_tpt_231_halfLds_half_op_CI_CI_unitstride_sbrr_R2C_dirReg,@function
fft_rtc_back_len1848_factors_3_11_7_4_2_wgs_231_tpt_231_halfLds_half_op_CI_CI_unitstride_sbrr_R2C_dirReg: ; @fft_rtc_back_len1848_factors_3_11_7_4_2_wgs_231_tpt_231_halfLds_half_op_CI_CI_unitstride_sbrr_R2C_dirReg
; %bb.0:
	s_load_dwordx4 s[8:11], s[4:5], 0x58
	s_load_dwordx4 s[12:15], s[4:5], 0x0
	;; [unrolled: 1-line block ×3, first 2 shown]
	v_mul_u32_u24_e32 v1, 0x11c, v0
	v_mov_b32_e32 v5, 0
	v_mov_b32_e32 v9, 0
	s_waitcnt lgkmcnt(0)
	v_cmp_lt_u64_e64 s[0:1], s[14:15], 2
	v_add_u32_sdwa v7, s6, v1 dst_sel:DWORD dst_unused:UNUSED_PAD src0_sel:DWORD src1_sel:WORD_1
	v_mov_b32_e32 v8, v5
	s_and_b64 vcc, exec, s[0:1]
	v_mov_b32_e32 v10, 0
	s_cbranch_vccnz .LBB0_8
; %bb.1:
	s_load_dwordx2 s[0:1], s[4:5], 0x10
	s_add_u32 s2, s18, 8
	s_addc_u32 s3, s19, 0
	s_add_u32 s6, s16, 8
	s_addc_u32 s7, s17, 0
	v_mov_b32_e32 v9, 0
	s_waitcnt lgkmcnt(0)
	s_add_u32 s20, s0, 8
	v_mov_b32_e32 v10, 0
	v_mov_b32_e32 v1, v9
	s_addc_u32 s21, s1, 0
	s_mov_b64 s[22:23], 1
	v_mov_b32_e32 v2, v10
.LBB0_2:                                ; =>This Inner Loop Header: Depth=1
	s_load_dwordx2 s[24:25], s[20:21], 0x0
                                        ; implicit-def: $vgpr3_vgpr4
	s_waitcnt lgkmcnt(0)
	v_or_b32_e32 v6, s25, v8
	v_cmp_ne_u64_e32 vcc, 0, v[5:6]
	s_and_saveexec_b64 s[0:1], vcc
	s_xor_b64 s[26:27], exec, s[0:1]
	s_cbranch_execz .LBB0_4
; %bb.3:                                ;   in Loop: Header=BB0_2 Depth=1
	v_cvt_f32_u32_e32 v3, s24
	v_cvt_f32_u32_e32 v4, s25
	s_sub_u32 s0, 0, s24
	s_subb_u32 s1, 0, s25
	v_mac_f32_e32 v3, 0x4f800000, v4
	v_rcp_f32_e32 v3, v3
	v_mul_f32_e32 v3, 0x5f7ffffc, v3
	v_mul_f32_e32 v4, 0x2f800000, v3
	v_trunc_f32_e32 v4, v4
	v_mac_f32_e32 v3, 0xcf800000, v4
	v_cvt_u32_f32_e32 v4, v4
	v_cvt_u32_f32_e32 v3, v3
	v_mul_lo_u32 v6, s0, v4
	v_mul_hi_u32 v11, s0, v3
	v_mul_lo_u32 v13, s1, v3
	v_mul_lo_u32 v12, s0, v3
	v_add_u32_e32 v6, v11, v6
	v_add_u32_e32 v6, v6, v13
	v_mul_hi_u32 v11, v3, v12
	v_mul_lo_u32 v13, v3, v6
	v_mul_hi_u32 v15, v3, v6
	v_mul_hi_u32 v14, v4, v12
	v_mul_lo_u32 v12, v4, v12
	v_mul_hi_u32 v16, v4, v6
	v_add_co_u32_e32 v11, vcc, v11, v13
	v_addc_co_u32_e32 v13, vcc, 0, v15, vcc
	v_mul_lo_u32 v6, v4, v6
	v_add_co_u32_e32 v11, vcc, v11, v12
	v_addc_co_u32_e32 v11, vcc, v13, v14, vcc
	v_addc_co_u32_e32 v12, vcc, 0, v16, vcc
	v_add_co_u32_e32 v6, vcc, v11, v6
	v_addc_co_u32_e32 v11, vcc, 0, v12, vcc
	v_add_co_u32_e32 v3, vcc, v3, v6
	v_addc_co_u32_e32 v4, vcc, v4, v11, vcc
	v_mul_lo_u32 v6, s0, v4
	v_mul_hi_u32 v11, s0, v3
	v_mul_lo_u32 v12, s1, v3
	v_mul_lo_u32 v13, s0, v3
	v_add_u32_e32 v6, v11, v6
	v_add_u32_e32 v6, v6, v12
	v_mul_lo_u32 v14, v3, v6
	v_mul_hi_u32 v15, v3, v13
	v_mul_hi_u32 v16, v3, v6
	v_mul_hi_u32 v12, v4, v13
	v_mul_lo_u32 v13, v4, v13
	v_mul_hi_u32 v11, v4, v6
	v_add_co_u32_e32 v14, vcc, v15, v14
	v_addc_co_u32_e32 v15, vcc, 0, v16, vcc
	v_mul_lo_u32 v6, v4, v6
	v_add_co_u32_e32 v13, vcc, v14, v13
	v_addc_co_u32_e32 v12, vcc, v15, v12, vcc
	v_addc_co_u32_e32 v11, vcc, 0, v11, vcc
	v_add_co_u32_e32 v6, vcc, v12, v6
	v_addc_co_u32_e32 v11, vcc, 0, v11, vcc
	v_add_co_u32_e32 v6, vcc, v3, v6
	v_addc_co_u32_e32 v11, vcc, v4, v11, vcc
	v_mad_u64_u32 v[3:4], s[0:1], v7, v11, 0
	v_mul_hi_u32 v12, v7, v6
	v_add_co_u32_e32 v13, vcc, v12, v3
	v_addc_co_u32_e32 v14, vcc, 0, v4, vcc
	v_mad_u64_u32 v[3:4], s[0:1], v8, v6, 0
	v_mad_u64_u32 v[11:12], s[0:1], v8, v11, 0
	v_add_co_u32_e32 v3, vcc, v13, v3
	v_addc_co_u32_e32 v3, vcc, v14, v4, vcc
	v_addc_co_u32_e32 v4, vcc, 0, v12, vcc
	v_add_co_u32_e32 v6, vcc, v3, v11
	v_addc_co_u32_e32 v11, vcc, 0, v4, vcc
	v_mul_lo_u32 v12, s25, v6
	v_mul_lo_u32 v13, s24, v11
	v_mad_u64_u32 v[3:4], s[0:1], s24, v6, 0
	v_add3_u32 v4, v4, v13, v12
	v_sub_u32_e32 v12, v8, v4
	v_mov_b32_e32 v13, s25
	v_sub_co_u32_e32 v3, vcc, v7, v3
	v_subb_co_u32_e64 v12, s[0:1], v12, v13, vcc
	v_subrev_co_u32_e64 v13, s[0:1], s24, v3
	v_subbrev_co_u32_e64 v12, s[0:1], 0, v12, s[0:1]
	v_cmp_le_u32_e64 s[0:1], s25, v12
	v_cndmask_b32_e64 v14, 0, -1, s[0:1]
	v_cmp_le_u32_e64 s[0:1], s24, v13
	v_cndmask_b32_e64 v13, 0, -1, s[0:1]
	v_cmp_eq_u32_e64 s[0:1], s25, v12
	v_cndmask_b32_e64 v12, v14, v13, s[0:1]
	v_add_co_u32_e64 v13, s[0:1], 2, v6
	v_addc_co_u32_e64 v14, s[0:1], 0, v11, s[0:1]
	v_add_co_u32_e64 v15, s[0:1], 1, v6
	v_addc_co_u32_e64 v16, s[0:1], 0, v11, s[0:1]
	v_subb_co_u32_e32 v4, vcc, v8, v4, vcc
	v_cmp_ne_u32_e64 s[0:1], 0, v12
	v_cmp_le_u32_e32 vcc, s25, v4
	v_cndmask_b32_e64 v12, v16, v14, s[0:1]
	v_cndmask_b32_e64 v14, 0, -1, vcc
	v_cmp_le_u32_e32 vcc, s24, v3
	v_cndmask_b32_e64 v3, 0, -1, vcc
	v_cmp_eq_u32_e32 vcc, s25, v4
	v_cndmask_b32_e32 v3, v14, v3, vcc
	v_cmp_ne_u32_e32 vcc, 0, v3
	v_cndmask_b32_e64 v3, v15, v13, s[0:1]
	v_cndmask_b32_e32 v4, v11, v12, vcc
	v_cndmask_b32_e32 v3, v6, v3, vcc
.LBB0_4:                                ;   in Loop: Header=BB0_2 Depth=1
	s_andn2_saveexec_b64 s[0:1], s[26:27]
	s_cbranch_execz .LBB0_6
; %bb.5:                                ;   in Loop: Header=BB0_2 Depth=1
	v_cvt_f32_u32_e32 v3, s24
	s_sub_i32 s26, 0, s24
	v_rcp_iflag_f32_e32 v3, v3
	v_mul_f32_e32 v3, 0x4f7ffffe, v3
	v_cvt_u32_f32_e32 v3, v3
	v_mul_lo_u32 v4, s26, v3
	v_mul_hi_u32 v4, v3, v4
	v_add_u32_e32 v3, v3, v4
	v_mul_hi_u32 v3, v7, v3
	v_mul_lo_u32 v4, v3, s24
	v_add_u32_e32 v6, 1, v3
	v_sub_u32_e32 v4, v7, v4
	v_subrev_u32_e32 v11, s24, v4
	v_cmp_le_u32_e32 vcc, s24, v4
	v_cndmask_b32_e32 v4, v4, v11, vcc
	v_cndmask_b32_e32 v3, v3, v6, vcc
	v_add_u32_e32 v6, 1, v3
	v_cmp_le_u32_e32 vcc, s24, v4
	v_cndmask_b32_e32 v3, v3, v6, vcc
	v_mov_b32_e32 v4, v5
.LBB0_6:                                ;   in Loop: Header=BB0_2 Depth=1
	s_or_b64 exec, exec, s[0:1]
	v_mul_lo_u32 v6, v4, s24
	v_mul_lo_u32 v13, v3, s25
	v_mad_u64_u32 v[11:12], s[0:1], v3, s24, 0
	s_load_dwordx2 s[0:1], s[6:7], 0x0
	s_load_dwordx2 s[24:25], s[2:3], 0x0
	v_add3_u32 v6, v12, v13, v6
	v_sub_co_u32_e32 v7, vcc, v7, v11
	v_subb_co_u32_e32 v6, vcc, v8, v6, vcc
	s_waitcnt lgkmcnt(0)
	v_mul_lo_u32 v8, s0, v6
	v_mul_lo_u32 v11, s1, v7
	v_mad_u64_u32 v[9:10], s[0:1], s0, v7, v[9:10]
	v_mul_lo_u32 v6, s24, v6
	v_mul_lo_u32 v12, s25, v7
	v_mad_u64_u32 v[1:2], s[0:1], s24, v7, v[1:2]
	s_add_u32 s22, s22, 1
	s_addc_u32 s23, s23, 0
	s_add_u32 s2, s2, 8
	v_add3_u32 v2, v12, v2, v6
	s_addc_u32 s3, s3, 0
	v_mov_b32_e32 v6, s14
	s_add_u32 s6, s6, 8
	v_mov_b32_e32 v7, s15
	s_addc_u32 s7, s7, 0
	v_cmp_ge_u64_e32 vcc, s[22:23], v[6:7]
	s_add_u32 s20, s20, 8
	v_add3_u32 v10, v11, v10, v8
	s_addc_u32 s21, s21, 0
	s_cbranch_vccnz .LBB0_9
; %bb.7:                                ;   in Loop: Header=BB0_2 Depth=1
	v_mov_b32_e32 v8, v4
	v_mov_b32_e32 v7, v3
	s_branch .LBB0_2
.LBB0_8:
	v_mov_b32_e32 v1, v9
	v_mov_b32_e32 v3, v7
	;; [unrolled: 1-line block ×4, first 2 shown]
.LBB0_9:
	s_load_dwordx2 s[4:5], s[4:5], 0x28
	s_lshl_b64 s[6:7], s[14:15], 3
	s_add_u32 s2, s18, s6
	s_addc_u32 s3, s19, s7
                                        ; implicit-def: $vgpr5
                                        ; implicit-def: $vgpr8
                                        ; implicit-def: $vgpr7
	s_waitcnt lgkmcnt(0)
	v_cmp_gt_u64_e64 s[0:1], s[4:5], v[3:4]
	v_cmp_le_u64_e32 vcc, s[4:5], v[3:4]
	s_and_saveexec_b64 s[4:5], vcc
	s_xor_b64 s[4:5], exec, s[4:5]
; %bb.10:
	s_mov_b32 s14, 0x11bb4a5
	v_mul_hi_u32 v5, v0, s14
                                        ; implicit-def: $vgpr9_vgpr10
	v_mul_u32_u24_e32 v5, 0xe7, v5
	v_sub_u32_e32 v5, v0, v5
	v_add_u32_e32 v8, 0xe7, v5
	v_add_u32_e32 v7, 0x1ce, v5
                                        ; implicit-def: $vgpr0
; %bb.11:
	s_andn2_saveexec_b64 s[4:5], s[4:5]
	s_cbranch_execz .LBB0_13
; %bb.12:
	s_add_u32 s6, s16, s6
	s_addc_u32 s7, s17, s7
	s_load_dwordx2 s[6:7], s[6:7], 0x0
	s_mov_b32 s14, 0x11bb4a5
	v_mul_hi_u32 v5, v0, s14
	s_waitcnt lgkmcnt(0)
	v_mul_lo_u32 v8, s7, v3
	v_mul_lo_u32 v11, s6, v4
	v_mad_u64_u32 v[6:7], s[6:7], s6, v3, 0
	v_mul_u32_u24_e32 v5, 0xe7, v5
	v_sub_u32_e32 v5, v0, v5
	v_add3_u32 v7, v7, v11, v8
	v_lshlrev_b64 v[6:7], 2, v[6:7]
	v_mov_b32_e32 v0, s9
	v_add_co_u32_e32 v8, vcc, s8, v6
	v_addc_co_u32_e32 v0, vcc, v0, v7, vcc
	v_lshlrev_b64 v[6:7], 2, v[9:10]
	v_lshlrev_b32_e32 v10, 2, v5
	v_add_co_u32_e32 v6, vcc, v8, v6
	v_addc_co_u32_e32 v0, vcc, v0, v7, vcc
	v_add_co_u32_e32 v6, vcc, v6, v10
	v_addc_co_u32_e32 v7, vcc, 0, v0, vcc
	;; [unrolled: 2-line block ×3, first 2 shown]
	global_load_dword v0, v[6:7], off
	global_load_dword v11, v[6:7], off offset:924
	global_load_dword v12, v[6:7], off offset:1848
	;; [unrolled: 1-line block ×7, first 2 shown]
	v_add_u32_e32 v8, 0xe7, v5
	v_add_u32_e32 v7, 0x1ce, v5
	;; [unrolled: 1-line block ×6, first 2 shown]
	s_waitcnt vmcnt(6)
	ds_write2_b32 v6, v0, v11 offset1:231
	s_waitcnt vmcnt(4)
	ds_write2_b32 v9, v12, v13 offset0:14 offset1:245
	s_waitcnt vmcnt(2)
	ds_write2_b32 v10, v14, v15 offset0:12 offset1:243
	;; [unrolled: 2-line block ×3, first 2 shown]
.LBB0_13:
	s_or_b64 exec, exec, s[4:5]
	v_lshl_add_u32 v0, v5, 2, 0
	v_add_u32_e32 v6, 0x600, v0
	s_load_dwordx2 s[2:3], s[2:3], 0x0
	s_waitcnt lgkmcnt(0)
	s_barrier
	ds_read2_b32 v[13:14], v6 offset0:78 offset1:232
	v_add_u32_e32 v6, 0x1300, v0
	ds_read2_b32 v[16:17], v6 offset0:16 offset1:247
	v_add_u32_e32 v6, 0xd00, v0
	ds_read2_b32 v[11:12], v0 offset1:231
	ds_read2_b32 v[18:19], v6 offset0:15 offset1:246
	ds_read_b32 v6, v0 offset:6776
	s_movk_i32 s4, 0x3aee
	s_mov_b32 s6, 0xffff
	v_lshl_add_u32 v20, v5, 3, v0
	s_waitcnt lgkmcnt(1)
	v_pk_add_f16 v15, v13, v19
	s_waitcnt lgkmcnt(0)
	v_pk_add_f16 v10, v19, v6
	v_pk_fma_f16 v13, v10, 0.5, v13 op_sel_hi:[1,0,1] neg_lo:[1,0,0] neg_hi:[1,0,0]
	v_pk_add_f16 v10, v14, v16
	v_pk_add_f16 v9, v11, v14
	v_pk_fma_f16 v11, v10, 0.5, v11 op_sel_hi:[1,0,1] neg_lo:[1,0,0] neg_hi:[1,0,0]
	v_pk_add_f16 v10, v14, v16 neg_lo:[0,1] neg_hi:[0,1]
	v_pk_mul_f16 v14, v10, s4 op_sel_hi:[1,0]
	v_pk_add_f16 v10, v11, v14 op_sel:[0,1] op_sel_hi:[1,0] neg_lo:[0,1] neg_hi:[0,1]
	v_pk_add_f16 v11, v11, v14 op_sel:[0,1] op_sel_hi:[1,0]
	v_pk_add_f16 v15, v15, v6
	v_pk_add_f16 v6, v19, v6 neg_lo:[0,1] neg_hi:[0,1]
	v_pk_add_f16 v9, v9, v16
	v_bfi_b32 v14, s6, v10, v11
	v_pk_mul_f16 v6, v6, s4 op_sel_hi:[1,0]
	s_barrier
	ds_write2_b32 v20, v9, v14 offset1:1
	v_bfi_b32 v14, s6, v11, v10
	v_pk_add_f16 v16, v13, v6 op_sel:[0,1] op_sel_hi:[1,0] neg_lo:[0,1] neg_hi:[0,1]
	v_pk_add_f16 v13, v13, v6 op_sel:[0,1] op_sel_hi:[1,0]
	v_pk_add_f16 v6, v18, v17
	ds_write_b32 v20, v14 offset:8
	v_pk_fma_f16 v14, v6, 0.5, v12 op_sel_hi:[1,0,1] neg_lo:[1,0,0] neg_hi:[1,0,0]
	v_pk_add_f16 v12, v12, v18
	v_pk_add_f16 v12, v12, v17
	v_pk_add_f16 v17, v18, v17 neg_lo:[0,1] neg_hi:[0,1]
	v_pk_mul_f16 v17, v17, s4 op_sel_hi:[1,0]
	v_pk_add_f16 v18, v14, v17 op_sel:[0,1] op_sel_hi:[1,0]
	v_pk_add_f16 v17, v14, v17 op_sel:[0,1] op_sel_hi:[1,0] neg_lo:[0,1] neg_hi:[0,1]
	v_mad_i32_i24 v19, v8, 12, 0
	v_bfi_b32 v14, s6, v17, v18
	s_movk_i32 s4, 0x9a
	v_lshrrev_b32_e32 v6, 16, v16
	ds_write2_b32 v19, v12, v14 offset1:1
	v_bfi_b32 v14, s6, v18, v17
	v_cmp_gt_u32_e32 vcc, s4, v5
	ds_write_b32 v19, v14 offset:8
	s_and_saveexec_b64 s[4:5], vcc
	s_cbranch_execz .LBB0_15
; %bb.14:
	v_bfi_b32 v14, s6, v16, v13
	v_mad_i32_i24 v19, v7, 12, 0
	s_mov_b32 s6, 0x5040100
	ds_write2_b32 v19, v15, v14 offset1:1
	v_perm_b32 v14, v6, v13, s6
	ds_write_b32 v19, v14 offset:8
.LBB0_15:
	s_or_b64 exec, exec, s[4:5]
	s_movk_i32 s4, 0xa8
	v_lshrrev_b32_e32 v21, 16, v10
	v_lshrrev_b32_e32 v25, 16, v17
	v_cmp_gt_u32_e32 vcc, s4, v5
	v_lshrrev_b32_e32 v26, 16, v15
	v_lshrrev_b32_e32 v27, 16, v13
	;; [unrolled: 1-line block ×5, first 2 shown]
	s_waitcnt lgkmcnt(0)
	s_barrier
	s_waitcnt lgkmcnt(0)
                                        ; implicit-def: $vgpr38
                                        ; implicit-def: $vgpr39
                                        ; implicit-def: $vgpr30
	s_and_saveexec_b64 s[4:5], vcc
	s_cbranch_execz .LBB0_17
; %bb.16:
	v_add_u32_e32 v6, 0x400, v0
	ds_read2_b32 v[11:12], v6 offset0:80 offset1:248
	v_add_u32_e32 v6, 0xa00, v0
	v_add_u32_e32 v13, 0x1400, v0
	ds_read2_b32 v[9:10], v0 offset1:168
	ds_read2_b32 v[13:14], v13 offset0:64 offset1:232
	ds_read2_b32 v[17:18], v6 offset0:32 offset1:200
	ds_read_b32 v30, v0 offset:6720
	v_add_u32_e32 v6, 0xf00, v0
	ds_read2_b32 v[15:16], v6 offset0:48 offset1:216
	s_waitcnt lgkmcnt(3)
	v_lshrrev_b32_e32 v6, 16, v13
	v_lshrrev_b32_e32 v38, 16, v14
	s_waitcnt lgkmcnt(1)
	v_lshrrev_b32_e32 v39, 16, v30
	v_lshrrev_b32_e32 v23, 16, v10
	v_lshrrev_b32_e32 v21, 16, v11
	v_lshrrev_b32_e32 v22, 16, v12
	v_lshrrev_b32_e32 v31, 16, v17
	v_lshrrev_b32_e32 v25, 16, v18
	s_waitcnt lgkmcnt(0)
	v_lshrrev_b32_e32 v26, 16, v15
	v_lshrrev_b32_e32 v27, 16, v16
.LBB0_17:
	s_or_b64 exec, exec, s[4:5]
	s_movk_i32 s4, 0xab
	v_mul_lo_u16_sdwa v19, v5, s4 dst_sel:DWORD dst_unused:UNUSED_PAD src0_sel:BYTE_0 src1_sel:DWORD
	v_lshrrev_b16_e32 v19, 9, v19
	v_mul_lo_u16_e32 v20, 3, v19
	v_sub_u16_e32 v20, v5, v20
	v_mov_b32_e32 v24, 10
	v_mul_u32_u24_sdwa v24, v20, v24 dst_sel:DWORD dst_unused:UNUSED_PAD src0_sel:BYTE_0 src1_sel:DWORD
	v_lshlrev_b32_e32 v24, 2, v24
	global_load_dwordx4 v[33:36], v24, s[12:13]
	global_load_dwordx4 v[40:43], v24, s[12:13] offset:16
	global_load_dwordx2 v[44:45], v24, s[12:13] offset:32
	s_movk_i32 s7, 0x3abb
	s_movk_i32 s6, 0x36a6
	s_mov_b32 s5, 0xb853
	s_mov_b32 s15, 0xbb47
	;; [unrolled: 1-line block ×4, first 2 shown]
	s_movk_i32 s16, 0x3482
	s_mov_b32 s9, 0xb08e
	s_mov_b32 s14, 0xbbad
	s_movk_i32 s17, 0x3beb
	s_waitcnt vmcnt(0)
	s_barrier
	v_mul_f16_sdwa v24, v21, v34 dst_sel:DWORD dst_unused:UNUSED_PAD src0_sel:DWORD src1_sel:WORD_1
	v_mul_f16_sdwa v37, v12, v35 dst_sel:DWORD dst_unused:UNUSED_PAD src0_sel:DWORD src1_sel:WORD_1
	;; [unrolled: 1-line block ×10, first 2 shown]
	v_fma_f16 v28, v11, v34, v24
	v_fma_f16 v22, v22, v35, -v37
	v_fma_f16 v24, v23, v33, -v46
	v_fma_f16 v37, v14, v44, v58
	v_fma_f16 v14, v38, v44, -v59
	v_fma_f16 v38, v30, v45, v60
	v_fma_f16 v30, v39, v45, -v61
	v_mul_f16_sdwa v50, v25, v40 dst_sel:DWORD dst_unused:UNUSED_PAD src0_sel:DWORD src1_sel:WORD_1
	v_mul_f16_sdwa v51, v18, v40 dst_sel:DWORD dst_unused:UNUSED_PAD src0_sel:DWORD src1_sel:WORD_1
	;; [unrolled: 1-line block ×5, first 2 shown]
	v_fma_f16 v29, v12, v35, v29
	v_fma_f16 v21, v21, v34, -v32
	v_fma_f16 v35, v10, v33, v47
	v_sub_f16_e32 v71, v24, v30
	v_add_f16_e32 v65, v24, v30
	v_mul_f16_sdwa v48, v17, v36 dst_sel:DWORD dst_unused:UNUSED_PAD src0_sel:DWORD src1_sel:WORD_1
	v_mul_f16_sdwa v49, v31, v36 dst_sel:DWORD dst_unused:UNUSED_PAD src0_sel:DWORD src1_sel:WORD_1
	;; [unrolled: 1-line block ×5, first 2 shown]
	v_fma_f16 v32, v18, v40, v50
	v_fma_f16 v34, v16, v42, v53
	v_fma_f16 v18, v25, v40, -v51
	v_fma_f16 v25, v26, v41, -v54
	;; [unrolled: 1-line block ×3, first 2 shown]
	v_add_f16_e32 v54, v35, v38
	v_sub_f16_e32 v70, v21, v14
	v_sub_f16_e32 v77, v35, v38
	v_add_f16_e32 v63, v21, v14
	v_mul_f16_e32 v40, 0xb853, v71
	v_mul_f16_e32 v42, 0x3abb, v65
	;; [unrolled: 1-line block ×3, first 2 shown]
	v_fma_f16 v23, v31, v36, -v48
	v_fma_f16 v31, v17, v36, v49
	v_fma_f16 v33, v15, v41, v52
	v_fma_f16 v27, v6, v43, -v56
	v_fma_f16 v36, v13, v43, v57
	v_add_f16_e32 v51, v28, v37
	v_sub_f16_e32 v76, v28, v37
	v_mul_f16_e32 v39, 0xbb47, v70
	v_mul_f16_e32 v41, 0x36a6, v63
	;; [unrolled: 1-line block ×4, first 2 shown]
	v_fma_f16 v6, v54, s7, -v40
	v_fma_f16 v11, v77, s5, v42
	v_fma_f16 v13, v54, s6, -v44
	v_mul_f16_e32 v45, 0xb93d, v63
	v_fma_f16 v10, v51, s6, -v39
	v_fma_f16 v12, v76, s15, v41
	v_fma_f16 v15, v51, s8, -v43
	v_fma_f16 v16, v77, s15, v46
	v_add_f16_e32 v6, v9, v6
	v_add_f16_sdwa v11, v9, v11 dst_sel:DWORD dst_unused:UNUSED_PAD src0_sel:WORD_1 src1_sel:DWORD
	v_add_f16_e32 v13, v9, v13
	s_mov_b32 s15, 0xbbeb
	v_mul_f16_e32 v52, 0xb08e, v65
	v_fma_f16 v17, v76, s4, v45
	v_add_f16_sdwa v16, v9, v16 dst_sel:DWORD dst_unused:UNUSED_PAD src0_sel:WORD_1 src1_sel:DWORD
	v_add_f16_e32 v6, v10, v6
	v_add_f16_e32 v10, v12, v11
	;; [unrolled: 1-line block ×3, first 2 shown]
	v_fma_f16 v15, v77, s15, v52
	v_mul_f16_e32 v55, 0xbbad, v63
	v_add_f16_e32 v12, v17, v16
	v_add_f16_sdwa v15, v9, v15 dst_sel:DWORD dst_unused:UNUSED_PAD src0_sel:WORD_1 src1_sel:DWORD
	v_fma_f16 v16, v76, s16, v55
	v_mul_f16_e32 v58, 0xba0c, v71
	v_mul_f16_e32 v47, 0xbbeb, v71
	v_add_f16_e32 v15, v16, v15
	v_fma_f16 v16, v54, s8, -v58
	v_mul_f16_e32 v59, 0x3beb, v70
	v_fma_f16 v48, v54, s9, -v47
	v_mul_f16_e32 v49, 0x3482, v70
	v_add_f16_e32 v16, v9, v16
	v_fma_f16 v17, v51, s9, -v59
	v_mul_f16_e32 v62, 0xb93d, v65
	v_add_f16_e32 v48, v9, v48
	v_fma_f16 v13, v51, s14, -v49
	v_add_f16_e32 v16, v17, v16
	v_fma_f16 v17, v77, s4, v62
	v_mul_f16_e32 v66, 0xb08e, v63
	v_add_f16_e32 v13, v13, v48
	v_add_f16_sdwa v17, v9, v17 dst_sel:DWORD dst_unused:UNUSED_PAD src0_sel:WORD_1 src1_sel:DWORD
	v_fma_f16 v48, v76, s17, v66
	v_sub_f16_e32 v89, v22, v27
	v_add_f16_e32 v17, v48, v17
	v_add_f16_e32 v72, v29, v36
	v_mul_f16_e32 v48, 0xbbeb, v89
	v_fma_f16 v50, v72, s9, -v48
	v_add_f16_e32 v84, v22, v27
	v_add_f16_e32 v6, v50, v6
	v_sub_f16_e32 v85, v29, v36
	v_mul_f16_e32 v50, 0xb08e, v84
	v_fma_f16 v53, v85, s15, v50
	v_add_f16_e32 v10, v53, v10
	v_mul_f16_e32 v53, 0x3482, v89
	v_fma_f16 v56, v72, s14, -v53
	v_mul_f16_e32 v57, 0xbbad, v84
	v_add_f16_e32 v11, v56, v11
	v_fma_f16 v56, v85, s16, v57
	v_mul_f16_e32 v61, 0x3b47, v89
	v_add_f16_e32 v12, v56, v12
	v_fma_f16 v56, v72, s6, -v61
	s_movk_i32 s15, 0x3b47
	v_mul_f16_e32 v68, 0x36a6, v84
	v_add_f16_e32 v13, v56, v13
	v_fma_f16 v56, v85, s15, v68
	v_mul_f16_e32 v74, 0xb853, v89
	v_add_f16_e32 v15, v56, v15
	v_fma_f16 v56, v72, s7, -v74
	v_mul_f16_e32 v79, 0x3abb, v84
	v_add_f16_e32 v16, v56, v16
	v_fma_f16 v56, v85, s5, v79
	v_sub_f16_e32 v96, v23, v26
	v_add_f16_e32 v17, v56, v17
	v_add_f16_e32 v82, v31, v34
	v_mul_f16_e32 v56, 0xba0c, v96
	v_fma_f16 v60, v82, s8, -v56
	v_add_f16_e32 v92, v23, v26
	v_add_f16_e32 v6, v60, v6
	v_sub_f16_e32 v88, v31, v34
	v_mul_f16_e32 v60, 0xb93d, v92
	v_fma_f16 v64, v88, s4, v60
	v_add_f16_e32 v10, v64, v10
	v_mul_f16_e32 v64, 0x3beb, v96
	v_fma_f16 v67, v82, s9, -v64
	v_mul_f16_e32 v69, 0xb08e, v92
	v_add_f16_e32 v81, v67, v11
	v_fma_f16 v11, v88, s17, v69
	v_mul_f16_e32 v75, 0xb853, v96
	v_add_f16_e32 v86, v11, v12
	v_fma_f16 v11, v82, s7, -v75
	v_mul_f16_e32 v80, 0x3abb, v92
	v_add_f16_e32 v90, v11, v13
	v_fma_f16 v11, v88, s5, v80
	v_mul_f16_e32 v83, 0xb482, v96
	v_add_f16_e32 v94, v11, v15
	v_fma_f16 v11, v82, s14, -v83
	s_mov_b32 s5, 0xb482
	v_mul_f16_e32 v87, 0xbbad, v92
	v_sub_f16_e32 v98, v18, v25
	v_add_f16_e32 v95, v11, v16
	v_fma_f16 v11, v88, s5, v87
	v_add_f16_e32 v91, v32, v33
	v_mul_f16_e32 v67, 0xb482, v98
	v_add_f16_e32 v97, v18, v25
	v_add_f16_e32 v99, v11, v17
	v_fma_f16 v11, v91, s14, -v67
	v_sub_f16_e32 v93, v32, v33
	v_mul_f16_e32 v73, 0xbbad, v97
	v_add_f16_e32 v11, v11, v6
	v_fma_f16 v6, v93, s5, v73
	v_mul_f16_e32 v78, 0x3853, v98
	v_add_f16_e32 v12, v6, v10
	v_fma_f16 v6, v91, s7, -v78
	v_add_f16_e32 v15, v6, v81
	s_movk_i32 s5, 0x3853
	v_mul_f16_e32 v81, 0x3abb, v97
	v_fma_f16 v6, v93, s5, v81
	v_add_f16_e32 v13, v6, v86
	v_mul_f16_e32 v86, 0xba0c, v98
	v_fma_f16 v6, v91, s8, -v86
	v_add_f16_e32 v16, v6, v90
	v_mul_f16_e32 v90, 0xb93d, v97
	v_fma_f16 v6, v93, s4, v90
	v_add_f16_e32 v17, v6, v94
	v_mul_f16_e32 v94, 0x3b47, v98
	v_fma_f16 v6, v91, s6, -v94
	v_add_f16_e32 v6, v6, v95
	v_mul_f16_e32 v95, 0x36a6, v97
	v_fma_f16 v10, v93, s15, v95
	v_add_f16_e32 v10, v10, v99
	s_and_saveexec_b64 s[4:5], vcc
	s_cbranch_execz .LBB0_19
; %bb.18:
	v_mul_f16_e32 v100, 0xb853, v77
	v_mul_f16_e32 v102, 0xbb47, v77
	;; [unrolled: 1-line block ×9, first 2 shown]
	v_fma_f16 v118, v65, s14, v77
	v_mul_f16_e32 v76, 0x3853, v76
	v_add_f16_sdwa v118, v9, v118 dst_sel:DWORD dst_unused:UNUSED_PAD src0_sel:WORD_1 src1_sel:DWORD
	v_fma_f16 v119, v63, s7, v76
	v_add_f16_e32 v118, v119, v118
	v_mul_f16_e32 v119, 0xba0c, v85
	v_fma_f16 v120, v84, s8, v119
	v_add_f16_e32 v118, v120, v118
	v_mul_f16_e32 v120, 0x3b47, v88
	;; [unrolled: 3-line block ×3, first 2 shown]
	v_mul_f16_e32 v99, 0x3abb, v54
	v_mul_f16_e32 v101, 0x36a6, v54
	;; [unrolled: 1-line block ×4, first 2 shown]
	v_fma_f16 v122, v97, s9, v121
	v_mul_f16_e32 v71, 0xb482, v71
	v_add_f16_e32 v118, v122, v118
	v_fma_f16 v122, v54, s14, -v71
	v_fma_f16 v65, v65, s14, -v77
	v_fma_f16 v54, v54, s14, v71
	v_sub_f16_e32 v62, v62, v106
	v_add_f16_e32 v58, v105, v58
	v_sub_f16_e32 v52, v52, v104
	v_add_f16_e32 v47, v103, v47
	v_sub_f16_e32 v46, v46, v102
	v_add_f16_e32 v44, v101, v44
	v_sub_f16_e32 v42, v42, v100
	v_add_f16_e32 v40, v99, v40
	v_add_f16_e32 v122, v9, v122
	v_add_f16_sdwa v65, v9, v65 dst_sel:DWORD dst_unused:UNUSED_PAD src0_sel:WORD_1 src1_sel:DWORD
	v_add_f16_e32 v54, v9, v54
	v_add_f16_sdwa v62, v9, v62 dst_sel:DWORD dst_unused:UNUSED_PAD src0_sel:WORD_1 src1_sel:DWORD
	;; [unrolled: 2-line block ×5, first 2 shown]
	v_add_f16_e32 v40, v9, v40
	v_add_f16_e32 v35, v9, v35
	v_add_f16_sdwa v9, v9, v24 dst_sel:DWORD dst_unused:UNUSED_PAD src0_sel:WORD_1 src1_sel:DWORD
	v_mul_f16_e32 v70, 0x3853, v70
	v_add_f16_e32 v28, v35, v28
	v_add_f16_e32 v9, v9, v21
	v_fma_f16 v123, v51, s7, -v70
	v_mul_f16_e32 v89, 0xba0c, v89
	v_add_f16_e32 v28, v28, v29
	v_add_f16_e32 v9, v9, v22
	;; [unrolled: 1-line block ×3, first 2 shown]
	v_fma_f16 v123, v72, s8, -v89
	v_mul_f16_e32 v96, 0x3b47, v96
	v_fma_f16 v63, v63, s7, -v76
	v_add_f16_e32 v28, v28, v31
	v_add_f16_e32 v9, v9, v23
	v_mul_f16_e32 v107, 0x36a6, v51
	v_add_f16_e32 v122, v123, v122
	v_fma_f16 v123, v82, s6, -v96
	v_mul_f16_e32 v98, 0xbbeb, v98
	v_add_f16_e32 v63, v63, v65
	v_fma_f16 v84, v84, s8, -v119
	v_add_f16_e32 v28, v28, v32
	v_add_f16_e32 v9, v9, v18
	v_mul_f16_e32 v109, 0xb93d, v51
	v_mul_f16_e32 v111, 0xbbad, v51
	;; [unrolled: 1-line block ×5, first 2 shown]
	v_add_f16_e32 v122, v123, v122
	v_fma_f16 v123, v91, s9, -v98
	v_add_f16_e32 v63, v84, v63
	v_fma_f16 v92, v92, s6, -v120
	v_fma_f16 v51, v51, s7, v70
	v_sub_f16_e32 v41, v41, v108
	v_add_f16_e32 v39, v107, v39
	v_add_f16_e32 v28, v28, v33
	;; [unrolled: 1-line block ×3, first 2 shown]
	v_mul_f16_e32 v117, 0xbbad, v72
	v_add_f16_e32 v122, v123, v122
	v_mul_f16_e32 v123, 0x3482, v85
	v_mul_f16_e32 v77, 0x36a6, v72
	;; [unrolled: 1-line block ×6, first 2 shown]
	v_add_f16_e32 v63, v92, v63
	v_fma_f16 v97, v97, s9, -v121
	v_add_f16_e32 v51, v51, v54
	v_fma_f16 v72, v72, s8, v89
	v_sub_f16_e32 v55, v55, v112
	v_add_f16_e32 v49, v111, v49
	v_sub_f16_e32 v45, v45, v110
	v_add_f16_e32 v43, v109, v43
	v_add_f16_e32 v41, v41, v42
	v_sub_f16_e32 v42, v50, v116
	v_add_f16_e32 v39, v39, v40
	v_add_f16_e32 v40, v115, v48
	;; [unrolled: 1-line block ×4, first 2 shown]
	v_mul_f16_e32 v85, 0xb853, v85
	v_mul_f16_e32 v120, 0xb08e, v82
	;; [unrolled: 1-line block ×4, first 2 shown]
	v_add_f16_e32 v63, v97, v63
	v_mul_f16_e32 v97, 0xb853, v88
	v_mul_f16_e32 v71, 0xbbad, v82
	;; [unrolled: 1-line block ×4, first 2 shown]
	v_add_f16_e32 v51, v72, v51
	v_fma_f16 v82, v82, s6, v96
	v_sub_f16_e32 v66, v66, v114
	v_add_f16_e32 v59, v113, v59
	v_add_f16_e32 v52, v55, v52
	v_sub_f16_e32 v55, v68, v76
	v_add_f16_e32 v47, v49, v47
	v_add_f16_e32 v49, v77, v61
	v_add_f16_e32 v45, v45, v46
	v_sub_f16_e32 v46, v57, v123
	v_add_f16_e32 v43, v43, v44
	;; [unrolled: 4-line block ×3, first 2 shown]
	v_add_f16_e32 v40, v119, v56
	v_add_f16_e32 v28, v28, v36
	;; [unrolled: 1-line block ×3, first 2 shown]
	v_mul_f16_e32 v88, 0xb482, v88
	v_mul_f16_e32 v89, 0x3abb, v91
	;; [unrolled: 1-line block ×4, first 2 shown]
	v_add_f16_e32 v51, v82, v51
	v_mul_f16_e32 v82, 0xba0c, v93
	v_add_f16_e32 v62, v66, v62
	v_sub_f16_e32 v66, v79, v85
	v_add_f16_e32 v58, v59, v58
	v_add_f16_e32 v59, v65, v74
	v_add_f16_e32 v52, v55, v52
	v_sub_f16_e32 v55, v80, v97
	v_add_f16_e32 v47, v49, v47
	v_add_f16_e32 v49, v121, v75
	;; [unrolled: 4-line block ×4, first 2 shown]
	v_add_f16_e32 v28, v28, v37
	v_add_f16_e32 v9, v9, v14
	v_mov_b32_e32 v18, 2
	v_fma_f16 v98, v91, s9, v98
	v_mul_f16_e32 v91, 0x36a6, v91
	v_mul_f16_e32 v93, 0x3b47, v93
	v_add_f16_e32 v62, v66, v62
	v_sub_f16_e32 v66, v87, v88
	v_add_f16_e32 v58, v59, v58
	v_add_f16_e32 v59, v71, v83
	v_add_f16_e32 v52, v55, v52
	v_sub_f16_e32 v55, v90, v82
	v_add_f16_e32 v47, v49, v47
	v_add_f16_e32 v49, v96, v86
	;; [unrolled: 4-line block ×3, first 2 shown]
	v_add_f16_e32 v41, v42, v41
	v_add_f16_e32 v39, v40, v39
	;; [unrolled: 1-line block ×4, first 2 shown]
	v_mul_u32_u24_e32 v14, 0x84, v19
	v_lshlrev_b32_sdwa v18, v18, v20 dst_sel:DWORD dst_unused:UNUSED_PAD src0_sel:DWORD src1_sel:BYTE_0
	v_add_f16_e32 v62, v66, v62
	v_sub_f16_e32 v66, v95, v93
	v_add_f16_e32 v58, v59, v58
	v_add_f16_e32 v59, v91, v94
	;; [unrolled: 1-line block ×6, first 2 shown]
	v_add3_u32 v14, 0, v14, v18
	v_pack_b32_f16 v9, v28, v9
	v_pack_b32_f16 v18, v39, v41
	v_add_f16_e32 v51, v98, v51
	v_add_f16_e32 v62, v66, v62
	;; [unrolled: 1-line block ×3, first 2 shown]
	ds_write2_b32 v14, v9, v18 offset1:3
	v_pack_b32_f16 v9, v43, v45
	v_pack_b32_f16 v18, v47, v52
	ds_write2_b32 v14, v9, v18 offset0:6 offset1:9
	v_pack_b32_f16 v9, v58, v62
	v_pack_b32_f16 v18, v51, v63
	s_mov_b32 s6, 0x5040100
	ds_write2_b32 v14, v9, v18 offset0:12 offset1:15
	v_pack_b32_f16 v9, v122, v118
	v_perm_b32 v18, v10, v6, s6
	ds_write2_b32 v14, v9, v18 offset0:18 offset1:21
	v_perm_b32 v9, v17, v16, s6
	v_perm_b32 v18, v13, v15, s6
	ds_write2_b32 v14, v9, v18 offset0:24 offset1:27
	v_perm_b32 v9, v12, v11, s6
	ds_write_b32 v14, v9 offset:120
.LBB0_19:
	s_or_b64 exec, exec, s[4:5]
	s_waitcnt lgkmcnt(0)
	s_barrier
	ds_read_b32 v23, v0
	ds_read_b32 v29, v0 offset:1056
	ds_read_b32 v28, v0 offset:2112
	;; [unrolled: 1-line block ×6, first 2 shown]
	v_cmp_gt_u32_e32 vcc, 33, v5
	v_lshl_add_u32 v14, v8, 2, 0
                                        ; implicit-def: $vgpr19
                                        ; implicit-def: $vgpr9
                                        ; implicit-def: $vgpr22
                                        ; implicit-def: $vgpr21
                                        ; implicit-def: $vgpr20
                                        ; implicit-def: $vgpr18
	s_and_saveexec_b64 s[4:5], vcc
	s_cbranch_execz .LBB0_21
; %bb.20:
	ds_read_b32 v6, v14
	ds_read_b32 v11, v0 offset:4092
	ds_read_b32 v9, v0 offset:5148
	;; [unrolled: 1-line block ×5, first 2 shown]
	ds_read_u16 v13, v0 offset:3038
	ds_read_b32 v15, v0 offset:3036
	s_waitcnt lgkmcnt(7)
	v_lshrrev_b32_e32 v10, 16, v6
	s_waitcnt lgkmcnt(6)
	v_lshrrev_b32_e32 v12, 16, v11
	;; [unrolled: 2-line block ×6, first 2 shown]
.LBB0_21:
	s_or_b64 exec, exec, s[4:5]
	s_movk_i32 s4, 0xf9
	v_mul_lo_u16_sdwa v30, v5, s4 dst_sel:DWORD dst_unused:UNUSED_PAD src0_sel:BYTE_0 src1_sel:DWORD
	v_lshrrev_b16_e32 v36, 13, v30
	v_mul_lo_u16_e32 v30, 33, v36
	v_sub_u16_e32 v37, v5, v30
	v_mov_b32_e32 v30, 6
	v_mul_u32_u24_sdwa v30, v37, v30 dst_sel:DWORD dst_unused:UNUSED_PAD src0_sel:BYTE_0 src1_sel:DWORD
	v_lshlrev_b32_e32 v38, 2, v30
	global_load_dwordx4 v[30:33], v38, s[12:13] offset:120
	global_load_dwordx2 v[34:35], v38, s[12:13] offset:136
	s_waitcnt lgkmcnt(5)
	v_lshrrev_b32_e32 v38, 16, v29
	s_waitcnt lgkmcnt(4)
	v_lshrrev_b32_e32 v39, 16, v28
	;; [unrolled: 2-line block ×4, first 2 shown]
	v_lshrrev_b32_e32 v40, 16, v27
	v_lshrrev_b32_e32 v41, 16, v26
	s_movk_i32 s14, 0x2b26
	s_mov_b32 s7, 0xbb00
	s_mov_b32 s9, 0xbcab
	s_movk_i32 s8, 0x39e0
	s_mov_b32 s15, 0xb9e0
	s_mov_b32 s17, 0xb574
	s_movk_i32 s18, 0x3574
	s_mov_b32 s16, 0xb70e
	s_waitcnt vmcnt(0)
	s_barrier
	s_mov_b32 s6, 0xffff
	v_mul_f16_sdwa v44, v30, v38 dst_sel:DWORD dst_unused:UNUSED_PAD src0_sel:WORD_1 src1_sel:DWORD
	v_mul_f16_sdwa v45, v30, v29 dst_sel:DWORD dst_unused:UNUSED_PAD src0_sel:WORD_1 src1_sel:DWORD
	;; [unrolled: 1-line block ×12, first 2 shown]
	v_fma_f16 v29, v30, v29, v44
	v_fma_f16 v30, v30, v38, -v45
	v_fma_f16 v28, v31, v28, v46
	v_fma_f16 v31, v31, v39, -v47
	;; [unrolled: 2-line block ×6, first 2 shown]
	v_add_f16_e32 v38, v29, v24
	v_add_f16_e32 v39, v30, v35
	v_sub_f16_e32 v24, v29, v24
	v_sub_f16_e32 v29, v30, v35
	v_add_f16_e32 v30, v28, v25
	v_add_f16_e32 v35, v31, v34
	v_sub_f16_e32 v25, v28, v25
	v_sub_f16_e32 v28, v31, v34
	;; [unrolled: 4-line block ×4, first 2 shown]
	v_sub_f16_e32 v38, v38, v31
	v_sub_f16_e32 v39, v39, v34
	;; [unrolled: 1-line block ×4, first 2 shown]
	v_add_f16_e32 v42, v26, v25
	v_add_f16_e32 v43, v27, v28
	v_sub_f16_e32 v44, v26, v25
	v_sub_f16_e32 v45, v27, v28
	;; [unrolled: 1-line block ×4, first 2 shown]
	v_add_f16_e32 v31, v31, v32
	v_add_f16_e32 v32, v34, v33
	v_sub_f16_e32 v26, v24, v26
	v_sub_f16_e32 v27, v29, v27
	v_add_f16_e32 v24, v42, v24
	v_add_f16_e32 v29, v43, v29
	v_mul_f16_e32 v33, 0x3a52, v38
	v_mul_f16_e32 v34, 0x3a52, v39
	;; [unrolled: 1-line block ×8, first 2 shown]
	v_add_f16_e32 v46, v31, v23
	v_add_f16_sdwa v23, v32, v23 dst_sel:DWORD dst_unused:UNUSED_PAD src0_sel:DWORD src1_sel:WORD_1
	v_fma_f16 v30, v30, s14, v33
	v_fma_f16 v35, v35, s14, v34
	v_fma_f16 v38, v40, s8, -v38
	v_fma_f16 v39, v41, s8, -v39
	v_fma_f16 v31, v31, s9, v46
	v_fma_f16 v32, v32, s9, v23
	v_fma_f16 v33, v40, s15, -v33
	v_fma_f16 v34, v41, s15, -v34
	;; [unrolled: 4-line block ×3, first 2 shown]
	v_fma_f16 v27, v27, s18, -v45
	v_fma_f16 v28, v28, s7, -v43
	v_add_f16_e32 v30, v30, v31
	v_add_f16_e32 v35, v35, v32
	;; [unrolled: 1-line block ×4, first 2 shown]
	v_fma_f16 v33, v24, s16, v40
	v_fma_f16 v25, v24, s16, v25
	;; [unrolled: 1-line block ×4, first 2 shown]
	v_add_f16_e32 v39, v39, v32
	v_add_f16_e32 v32, v34, v32
	v_fma_f16 v34, v29, s16, v41
	v_fma_f16 v28, v29, s16, v28
	v_sub_f16_e32 v29, v35, v33
	v_add_f16_e32 v40, v26, v31
	v_sub_f16_e32 v26, v31, v26
	v_add_f16_e32 v31, v33, v35
	v_mov_b32_e32 v33, 2
	v_add_f16_e32 v27, v34, v30
	v_sub_f16_e32 v41, v32, v24
	v_add_f16_e32 v24, v24, v32
	v_mul_u32_u24_e32 v32, 0x39c, v36
	v_lshlrev_b32_sdwa v33, v33, v37 dst_sel:DWORD dst_unused:UNUSED_PAD src0_sel:DWORD src1_sel:BYTE_0
	v_sub_f16_e32 v42, v38, v28
	v_add_f16_e32 v43, v25, v39
	v_add3_u32 v32, 0, v32, v33
	v_pack_b32_f16 v23, v46, v23
	v_pack_b32_f16 v27, v27, v29
	v_add_f16_e32 v28, v28, v38
	v_sub_f16_e32 v25, v39, v25
	ds_write2_b32 v32, v23, v27 offset1:33
	v_pack_b32_f16 v23, v40, v41
	v_pack_b32_f16 v27, v42, v43
	v_sub_f16_e32 v30, v30, v34
	ds_write2_b32 v32, v23, v27 offset0:66 offset1:99
	v_pack_b32_f16 v23, v28, v25
	v_pack_b32_f16 v24, v26, v24
	ds_write2_b32 v32, v23, v24 offset0:132 offset1:165
	v_pack_b32_f16 v23, v30, v31
	ds_write_b32 v32, v23 offset:792
	s_and_saveexec_b64 s[4:5], vcc
	s_cbranch_execz .LBB0_23
; %bb.22:
	s_mov_b32 s19, 0xf83f
	v_mul_u32_u24_sdwa v23, v8, s19 dst_sel:DWORD dst_unused:UNUSED_PAD src0_sel:WORD_0 src1_sel:DWORD
	v_lshrrev_b32_e32 v23, 21, v23
	v_mul_lo_u16_e32 v23, 33, v23
	v_sub_u16_e32 v29, v8, v23
	v_mul_u32_u24_e32 v23, 6, v29
	v_lshlrev_b32_e32 v30, 2, v23
	global_load_dwordx4 v[23:26], v30, s[12:13] offset:120
	global_load_dwordx2 v[27:28], v30, s[12:13] offset:136
	s_waitcnt vmcnt(1)
	v_mul_f16_sdwa v30, v17, v23 dst_sel:DWORD dst_unused:UNUSED_PAD src0_sel:DWORD src1_sel:WORD_1
	s_waitcnt vmcnt(0)
	v_mul_f16_sdwa v31, v22, v28 dst_sel:DWORD dst_unused:UNUSED_PAD src0_sel:DWORD src1_sel:WORD_1
	v_mul_f16_sdwa v32, v19, v26 dst_sel:DWORD dst_unused:UNUSED_PAD src0_sel:DWORD src1_sel:WORD_1
	;; [unrolled: 1-line block ×11, first 2 shown]
	v_fma_f16 v16, v16, v23, v30
	v_fma_f16 v21, v21, v28, v31
	;; [unrolled: 1-line block ×6, first 2 shown]
	v_fma_f16 v22, v22, v28, -v36
	v_fma_f16 v17, v17, v23, -v37
	;; [unrolled: 1-line block ×6, first 2 shown]
	v_sub_f16_e32 v23, v16, v21
	v_sub_f16_e32 v24, v9, v11
	v_add_f16_e32 v26, v17, v22
	v_add_f16_e32 v28, v13, v20
	;; [unrolled: 1-line block ×5, first 2 shown]
	v_sub_f16_e32 v25, v15, v18
	v_add_f16_e32 v27, v12, v19
	v_sub_f16_e32 v15, v17, v22
	v_sub_f16_e32 v12, v19, v12
	;; [unrolled: 1-line block ×3, first 2 shown]
	v_add_f16_e32 v22, v28, v26
	v_add_f16_e32 v31, v11, v16
	v_sub_f16_e32 v17, v23, v24
	v_sub_f16_e32 v18, v24, v25
	v_add_f16_e32 v19, v24, v25
	v_sub_f16_e32 v20, v26, v27
	v_sub_f16_e32 v21, v27, v28
	;; [unrolled: 1-line block ×6, first 2 shown]
	v_add_f16_e32 v12, v12, v13
	v_sub_f16_e32 v25, v25, v23
	v_sub_f16_e32 v13, v13, v15
	v_add_f16_e32 v22, v27, v22
	v_add_f16_e32 v9, v9, v31
	v_sub_f16_e32 v26, v28, v26
	v_sub_f16_e32 v11, v11, v16
	v_mul_f16_e32 v16, 0x3846, v18
	v_add_f16_e32 v18, v19, v23
	v_mul_f16_e32 v19, 0x3a52, v20
	v_mul_f16_e32 v20, 0x2b26, v21
	;; [unrolled: 1-line block ×5, first 2 shown]
	v_add_f16_e32 v12, v12, v15
	v_mul_f16_e32 v15, 0xbb00, v25
	v_mul_f16_e32 v28, 0xbb00, v13
	v_add_f16_e32 v10, v10, v22
	v_add_f16_e32 v6, v6, v9
	v_fma_f16 v31, v17, s17, v16
	v_fma_f16 v21, v21, s14, v19
	;; [unrolled: 1-line block ×4, first 2 shown]
	v_fma_f16 v15, v17, s18, -v15
	v_fma_f16 v17, v26, s15, -v19
	;; [unrolled: 1-line block ×4, first 2 shown]
	v_fma_f16 v22, v22, s9, v10
	v_fma_f16 v9, v9, s9, v6
	v_fma_f16 v20, v26, s8, -v20
	v_fma_f16 v16, v25, s7, -v16
	;; [unrolled: 1-line block ×4, first 2 shown]
	v_fma_f16 v28, v18, s16, v31
	v_fma_f16 v31, v12, s16, v33
	;; [unrolled: 1-line block ×4, first 2 shown]
	v_add_f16_e32 v21, v21, v22
	v_add_f16_e32 v30, v30, v9
	;; [unrolled: 1-line block ×5, first 2 shown]
	v_fma_f16 v16, v18, s16, v16
	v_fma_f16 v12, v12, s16, v13
	v_add_f16_e32 v9, v11, v9
	v_add_f16_e32 v34, v15, v17
	v_sub_f16_e32 v35, v19, v23
	v_sub_f16_e32 v18, v20, v16
	v_add_f16_e32 v11, v12, v9
	v_add_f16_e32 v13, v16, v20
	v_sub_f16_e32 v9, v9, v12
	v_sub_f16_e32 v12, v17, v15
	v_add_f16_e32 v15, v23, v19
	v_sub_f16_e32 v16, v21, v28
	v_add_f16_e32 v17, v31, v30
	v_lshl_add_u32 v19, v29, 2, 0
	v_pack_b32_f16 v6, v6, v10
	v_pack_b32_f16 v10, v17, v16
	v_add_u32_e32 v16, 0x1800, v19
	ds_write2_b32 v16, v6, v10 offset0:81 offset1:114
	v_pack_b32_f16 v6, v15, v12
	v_pack_b32_f16 v9, v9, v13
	v_add_f16_e32 v32, v28, v21
	v_sub_f16_e32 v33, v30, v31
	ds_write2_b32 v16, v6, v9 offset0:147 offset1:180
	v_pack_b32_f16 v6, v11, v18
	v_pack_b32_f16 v9, v35, v34
	ds_write2_b32 v16, v6, v9 offset0:213 offset1:246
	v_pack_b32_f16 v6, v33, v32
	ds_write_b32 v19, v6 offset:7260
.LBB0_23:
	s_or_b64 exec, exec, s[4:5]
	v_mul_u32_u24_e32 v6, 3, v5
	v_lshlrev_b32_e32 v6, 2, v6
	s_waitcnt lgkmcnt(0)
	s_barrier
	global_load_dwordx3 v[9:11], v6, s[12:13] offset:912
	v_add_u32_e32 v20, 0xa80, v0
	ds_read_b32 v6, v0
	ds_read_b32 v18, v14
	v_lshl_add_u32 v15, v7, 2, 0
	v_add_u32_e32 v21, 0x1200, v0
	ds_read2_b32 v[12:13], v20 offset0:21 offset1:252
	ds_read2_b32 v[16:17], v21 offset0:3 offset1:234
	ds_read_b32 v22, v15
	ds_read_u16 v23, v0 offset:6470
	ds_read_b32 v24, v0 offset:6468
	s_waitcnt lgkmcnt(4)
	v_lshrrev_b32_e32 v28, 16, v13
	s_waitcnt lgkmcnt(3)
	v_lshrrev_b32_e32 v29, 16, v17
	;; [unrolled: 2-line block ×3, first 2 shown]
	v_lshrrev_b32_e32 v30, 16, v12
	v_lshrrev_b32_e32 v31, 16, v16
	v_lshrrev_b32_e32 v25, 16, v6
	v_lshrrev_b32_e32 v26, 16, v18
	v_add_u32_e32 v19, 0x700, v0
	s_waitcnt vmcnt(0) lgkmcnt(0)
	s_barrier
	s_movk_i32 s4, 0x1000
	s_add_u32 s7, s12, 0x1cd4
	v_mul_f16_sdwa v32, v9, v27 dst_sel:DWORD dst_unused:UNUSED_PAD src0_sel:WORD_1 src1_sel:DWORD
	v_mul_f16_sdwa v33, v9, v22 dst_sel:DWORD dst_unused:UNUSED_PAD src0_sel:WORD_1 src1_sel:DWORD
	;; [unrolled: 1-line block ×10, first 2 shown]
	v_mul_f16_sdwa v42, v23, v11 dst_sel:DWORD dst_unused:UNUSED_PAD src0_sel:DWORD src1_sel:WORD_1
	v_mul_f16_sdwa v43, v11, v24 dst_sel:DWORD dst_unused:UNUSED_PAD src0_sel:WORD_1 src1_sel:DWORD
	v_fma_f16 v22, v9, v22, v32
	v_fma_f16 v27, v9, v27, -v33
	v_fma_f16 v13, v10, v13, v34
	v_fma_f16 v28, v10, v28, -v35
	;; [unrolled: 2-line block ×6, first 2 shown]
	v_sub_f16_e32 v13, v6, v13
	v_sub_f16_e32 v23, v25, v28
	;; [unrolled: 1-line block ×8, first 2 shown]
	v_fma_f16 v6, v6, 2.0, -v13
	v_fma_f16 v25, v25, 2.0, -v23
	;; [unrolled: 1-line block ×4, first 2 shown]
	v_add_f16_e32 v28, v13, v28
	v_sub_f16_e32 v17, v23, v17
	v_fma_f16 v18, v18, 2.0, -v16
	v_fma_f16 v26, v26, 2.0, -v10
	;; [unrolled: 1-line block ×4, first 2 shown]
	v_sub_f16_e32 v22, v6, v22
	v_sub_f16_e32 v27, v25, v27
	v_add_f16_e32 v11, v16, v11
	v_sub_f16_e32 v24, v10, v24
	v_fma_f16 v13, v13, 2.0, -v28
	v_fma_f16 v23, v23, 2.0, -v17
	v_sub_f16_e32 v12, v18, v12
	v_sub_f16_e32 v9, v26, v9
	v_fma_f16 v6, v6, 2.0, -v22
	v_fma_f16 v25, v25, 2.0, -v27
	;; [unrolled: 1-line block ×4, first 2 shown]
	v_pack_b32_f16 v17, v28, v17
	v_fma_f16 v18, v18, 2.0, -v12
	v_fma_f16 v26, v26, 2.0, -v9
	v_pack_b32_f16 v13, v13, v23
	v_pack_b32_f16 v22, v22, v27
	;; [unrolled: 1-line block ×3, first 2 shown]
	ds_write2_b32 v19, v22, v17 offset0:14 offset1:245
	v_pack_b32_f16 v17, v18, v26
	ds_write2_b32 v0, v6, v13 offset1:231
	v_pack_b32_f16 v6, v16, v10
	v_add_u32_e32 v10, 0xe40, v0
	ds_write2_b32 v10, v17, v6 offset0:12 offset1:243
	v_pack_b32_f16 v6, v12, v9
	v_pack_b32_f16 v9, v11, v24
	v_add_u32_e32 v10, 0x1580, v0
	ds_write2_b32 v10, v6, v9 offset0:10 offset1:241
	v_mov_b32_e32 v6, 0
	v_lshlrev_b64 v[10:11], 2, v[5:6]
	v_mov_b32_e32 v9, v6
	v_mov_b32_e32 v22, s13
	v_add_co_u32_e32 v16, vcc, s12, v10
	v_lshlrev_b64 v[12:13], 2, v[8:9]
	v_addc_co_u32_e32 v17, vcc, v22, v11, vcc
	v_mov_b32_e32 v8, v6
	v_add_co_u32_e32 v18, vcc, s12, v12
	v_lshlrev_b64 v[6:7], 2, v[7:8]
	v_addc_co_u32_e32 v19, vcc, v22, v13, vcc
	v_add_co_u32_e32 v8, vcc, s12, v6
	v_addc_co_u32_e32 v9, vcc, v22, v7, vcc
	s_waitcnt lgkmcnt(0)
	s_barrier
	global_load_dword v22, v[16:17], off offset:3684
	v_add_co_u32_e32 v16, vcc, s4, v16
	v_addc_co_u32_e32 v17, vcc, 0, v17, vcc
	global_load_dword v23, v[16:17], off offset:2360
	global_load_dword v24, v[8:9], off offset:3684
	;; [unrolled: 1-line block ×3, first 2 shown]
	ds_read_b32 v18, v0
	ds_read2_b32 v[8:9], v20 offset0:21 offset1:252
	ds_read_b32 v19, v14
	ds_read2_b32 v[16:17], v21 offset0:3 offset1:234
	ds_read_b32 v20, v15
	ds_read_b32 v21, v0 offset:6468
	s_waitcnt vmcnt(0) lgkmcnt(0)
	s_barrier
	v_cmp_ne_u32_e32 vcc, 0, v5
	v_pk_mul_f16 v26, v22, v9 op_sel:[0,1]
	v_pk_fma_f16 v30, v22, v9, v26 op_sel:[0,0,1] op_sel_hi:[1,1,0]
	v_pk_fma_f16 v9, v22, v9, v26 op_sel:[0,0,1] op_sel_hi:[1,0,0] neg_lo:[1,0,0] neg_hi:[1,0,0]
	v_pk_mul_f16 v27, v23, v21 op_sel:[0,1]
	v_pk_mul_f16 v28, v24, v17 op_sel:[0,1]
	;; [unrolled: 1-line block ×3, first 2 shown]
	v_pk_fma_f16 v22, v23, v21, v27 op_sel:[0,0,1] op_sel_hi:[1,1,0]
	v_pk_fma_f16 v21, v23, v21, v27 op_sel:[0,0,1] op_sel_hi:[1,0,0] neg_lo:[1,0,0] neg_hi:[1,0,0]
	v_pk_fma_f16 v23, v24, v17, v28 op_sel:[0,0,1] op_sel_hi:[1,1,0]
	v_pk_fma_f16 v17, v24, v17, v28 op_sel:[0,0,1] op_sel_hi:[1,0,0] neg_lo:[1,0,0] neg_hi:[1,0,0]
	;; [unrolled: 2-line block ×3, first 2 shown]
	v_bfi_b32 v9, s6, v30, v9
	v_bfi_b32 v21, s6, v22, v21
	;; [unrolled: 1-line block ×4, first 2 shown]
	v_pk_add_f16 v9, v18, v9 neg_lo:[0,1] neg_hi:[0,1]
	v_pk_add_f16 v21, v8, v21 neg_lo:[0,1] neg_hi:[0,1]
	;; [unrolled: 1-line block ×4, first 2 shown]
	v_pk_fma_f16 v18, v18, 2.0, v9 op_sel_hi:[1,0,1] neg_lo:[0,0,1] neg_hi:[0,0,1]
	v_pk_fma_f16 v8, v8, 2.0, v21 op_sel_hi:[1,0,1] neg_lo:[0,0,1] neg_hi:[0,0,1]
	;; [unrolled: 1-line block ×4, first 2 shown]
	ds_write_b32 v0, v9 offset:3696
	ds_write_b32 v0, v18
	ds_write_b32 v14, v19
	ds_write_b32 v14, v16 offset:3696
	ds_write_b32 v15, v20
	ds_write_b32 v15, v17 offset:3696
	ds_write_b32 v0, v8 offset:2772
	;; [unrolled: 1-line block ×3, first 2 shown]
	s_waitcnt lgkmcnt(0)
	s_barrier
	ds_read_b32 v18, v0
	v_lshlrev_b32_e32 v8, 2, v5
	s_addc_u32 s6, s13, 0
	v_sub_u32_e32 v8, 0, v8
                                        ; implicit-def: $vgpr17
                                        ; implicit-def: $vgpr9
                                        ; implicit-def: $vgpr16
	s_and_saveexec_b64 s[4:5], vcc
	s_xor_b64 s[4:5], exec, s[4:5]
	s_cbranch_execz .LBB0_25
; %bb.24:
	v_mov_b32_e32 v9, s6
	v_add_co_u32_e32 v16, vcc, s7, v10
	v_addc_co_u32_e32 v17, vcc, v9, v11, vcc
	global_load_dword v9, v[16:17], off
	ds_read_b32 v16, v8 offset:7392
	s_mov_b32 s8, 0xffff
	s_waitcnt lgkmcnt(0)
	v_pk_add_f16 v17, v18, v16 neg_lo:[0,1] neg_hi:[0,1]
	v_pk_add_f16 v16, v16, v18
	v_bfi_b32 v18, s8, v17, v16
	v_bfi_b32 v16, s8, v16, v17
	v_pk_mul_f16 v17, v18, 0.5 op_sel_hi:[1,0]
	v_pk_mul_f16 v18, v16, 0.5 op_sel_hi:[1,0]
	s_waitcnt vmcnt(0)
	v_pk_mul_f16 v19, v9, v17 op_sel:[1,0]
	v_pk_mul_f16 v20, v9, v17 op_sel_hi:[0,1]
	v_pk_fma_f16 v9, v16, 0.5, v19 op_sel_hi:[1,0,1]
	v_sub_f16_e32 v16, v18, v19
	v_sub_f16_sdwa v18, v19, v18 dst_sel:DWORD dst_unused:UNUSED_PAD src0_sel:WORD_1 src1_sel:WORD_1
	v_pk_add_f16 v17, v9, v20 op_sel:[0,1] op_sel_hi:[1,0]
	v_pk_add_f16 v19, v9, v20 op_sel:[0,1] op_sel_hi:[1,0] neg_lo:[0,1] neg_hi:[0,1]
	v_sub_f16_sdwa v9, v16, v20 dst_sel:DWORD dst_unused:UNUSED_PAD src0_sel:DWORD src1_sel:WORD_1
	v_bfi_b32 v17, s8, v17, v19
	v_sub_f16_e32 v16, v18, v20
                                        ; implicit-def: $vgpr18
.LBB0_25:
	s_andn2_saveexec_b64 s[4:5], s[4:5]
	s_cbranch_execz .LBB0_27
; %bb.26:
	v_mov_b32_e32 v16, 0
	ds_read_u16 v17, v16 offset:3698
	s_waitcnt lgkmcnt(1)
	v_alignbit_b32 v19, s0, v18, 16
	v_sub_f16_sdwa v9, v18, v18 dst_sel:DWORD dst_unused:UNUSED_PAD src0_sel:DWORD src1_sel:WORD_1
	v_pk_add_f16 v18, v19, v18
	s_waitcnt lgkmcnt(0)
	v_xor_b32_e32 v17, 0x8000, v17
	ds_write_b16 v16, v17 offset:3698
	v_pack_b32_f16 v17, v18, 0
.LBB0_27:
	s_or_b64 exec, exec, s[4:5]
	s_waitcnt lgkmcnt(0)
	v_mov_b32_e32 v18, s6
	v_add_co_u32_e32 v12, vcc, s7, v12
	v_addc_co_u32_e32 v13, vcc, v18, v13, vcc
	global_load_dword v12, v[12:13], off
	v_mov_b32_e32 v13, s6
	v_add_co_u32_e32 v6, vcc, s7, v6
	v_addc_co_u32_e32 v7, vcc, v13, v7, vcc
	global_load_dword v13, v[6:7], off
	v_mov_b32_e32 v7, s6
	v_add_co_u32_e32 v6, vcc, s7, v10
	v_addc_co_u32_e32 v7, vcc, v7, v11, vcc
	global_load_dword v6, v[6:7], off offset:2772
	ds_write_b16 v8, v16 offset:7394
	ds_write_b32 v0, v17
	ds_write_b16 v8, v9 offset:7392
	ds_read_b32 v7, v14
	ds_read_b32 v9, v8 offset:6468
	s_mov_b32 s4, 0xffff
	s_waitcnt lgkmcnt(0)
	v_pk_add_f16 v10, v7, v9 neg_lo:[0,1] neg_hi:[0,1]
	v_pk_add_f16 v7, v7, v9
	v_bfi_b32 v9, s4, v10, v7
	v_bfi_b32 v7, s4, v7, v10
	v_pk_mul_f16 v9, v9, 0.5 op_sel_hi:[1,0]
	v_pk_mul_f16 v7, v7, 0.5 op_sel_hi:[1,0]
	s_waitcnt vmcnt(2)
	v_pk_fma_f16 v10, v12, v9, v7 op_sel:[1,0,0]
	v_pk_mul_f16 v11, v12, v9 op_sel_hi:[0,1]
	v_pk_fma_f16 v16, v12, v9, v7 op_sel:[1,0,0] neg_lo:[1,0,0] neg_hi:[1,0,0]
	v_pk_fma_f16 v7, v12, v9, v7 op_sel:[1,0,0] neg_lo:[0,0,1] neg_hi:[0,0,1]
	v_pk_add_f16 v9, v10, v11 op_sel:[0,1] op_sel_hi:[1,0]
	v_pk_add_f16 v10, v10, v11 op_sel:[0,1] op_sel_hi:[1,0] neg_lo:[0,1] neg_hi:[0,1]
	v_pk_add_f16 v12, v16, v11 op_sel:[0,1] op_sel_hi:[1,0] neg_lo:[0,1] neg_hi:[0,1]
	;; [unrolled: 1-line block ×3, first 2 shown]
	v_bfi_b32 v9, s4, v9, v10
	v_bfi_b32 v7, s4, v12, v7
	ds_write_b32 v14, v9
	ds_write_b32 v8, v7 offset:6468
	ds_read_b32 v7, v15
	ds_read_b32 v9, v8 offset:5544
	s_waitcnt lgkmcnt(0)
	v_pk_add_f16 v10, v7, v9 neg_lo:[0,1] neg_hi:[0,1]
	v_pk_add_f16 v7, v7, v9
	v_bfi_b32 v9, s4, v10, v7
	v_bfi_b32 v7, s4, v7, v10
	v_pk_mul_f16 v9, v9, 0.5 op_sel_hi:[1,0]
	v_pk_mul_f16 v7, v7, 0.5 op_sel_hi:[1,0]
	s_waitcnt vmcnt(1)
	v_pk_fma_f16 v10, v13, v9, v7 op_sel:[1,0,0]
	v_pk_mul_f16 v11, v13, v9 op_sel_hi:[0,1]
	v_pk_fma_f16 v12, v13, v9, v7 op_sel:[1,0,0] neg_lo:[1,0,0] neg_hi:[1,0,0]
	v_pk_fma_f16 v7, v13, v9, v7 op_sel:[1,0,0] neg_lo:[0,0,1] neg_hi:[0,0,1]
	v_pk_add_f16 v9, v10, v11 op_sel:[0,1] op_sel_hi:[1,0]
	v_pk_add_f16 v10, v10, v11 op_sel:[0,1] op_sel_hi:[1,0] neg_lo:[0,1] neg_hi:[0,1]
	v_pk_add_f16 v12, v12, v11 op_sel:[0,1] op_sel_hi:[1,0] neg_lo:[0,1] neg_hi:[0,1]
	;; [unrolled: 1-line block ×3, first 2 shown]
	v_bfi_b32 v9, s4, v9, v10
	v_bfi_b32 v7, s4, v12, v7
	ds_write_b32 v15, v9
	ds_write_b32 v8, v7 offset:5544
	ds_read_b32 v7, v0 offset:2772
	ds_read_b32 v9, v8 offset:4620
	s_waitcnt lgkmcnt(0)
	v_pk_add_f16 v10, v7, v9 neg_lo:[0,1] neg_hi:[0,1]
	v_pk_add_f16 v7, v7, v9
	v_bfi_b32 v9, s4, v10, v7
	v_bfi_b32 v7, s4, v7, v10
	v_pk_mul_f16 v9, v9, 0.5 op_sel_hi:[1,0]
	v_pk_mul_f16 v7, v7, 0.5 op_sel_hi:[1,0]
	s_waitcnt vmcnt(0)
	v_pk_fma_f16 v10, v6, v9, v7 op_sel:[1,0,0]
	v_pk_mul_f16 v11, v6, v9 op_sel_hi:[0,1]
	v_pk_fma_f16 v12, v6, v9, v7 op_sel:[1,0,0] neg_lo:[1,0,0] neg_hi:[1,0,0]
	v_pk_fma_f16 v6, v6, v9, v7 op_sel:[1,0,0] neg_lo:[0,0,1] neg_hi:[0,0,1]
	v_pk_add_f16 v7, v10, v11 op_sel:[0,1] op_sel_hi:[1,0]
	v_pk_add_f16 v9, v10, v11 op_sel:[0,1] op_sel_hi:[1,0] neg_lo:[0,1] neg_hi:[0,1]
	v_pk_add_f16 v10, v12, v11 op_sel:[0,1] op_sel_hi:[1,0] neg_lo:[0,1] neg_hi:[0,1]
	;; [unrolled: 1-line block ×3, first 2 shown]
	v_bfi_b32 v7, s4, v7, v9
	v_bfi_b32 v6, s4, v10, v6
	ds_write_b32 v0, v7 offset:2772
	ds_write_b32 v8, v6 offset:4620
	s_waitcnt lgkmcnt(0)
	s_barrier
	s_and_saveexec_b64 s[4:5], s[0:1]
	s_cbranch_execz .LBB0_30
; %bb.28:
	v_mul_lo_u32 v0, s3, v3
	v_mul_lo_u32 v6, s2, v4
	v_mad_u64_u32 v[3:4], s[0:1], s2, v3, 0
	v_lshlrev_b64 v[1:2], 2, v[1:2]
	v_lshl_add_u32 v9, v5, 2, 0
	v_add3_u32 v4, v4, v6, v0
	v_lshlrev_b64 v[3:4], 2, v[3:4]
	v_mov_b32_e32 v0, s11
	v_add_co_u32_e32 v3, vcc, s10, v3
	v_addc_co_u32_e32 v0, vcc, v0, v4, vcc
	v_mov_b32_e32 v6, 0
	ds_read2_b32 v[7:8], v9 offset1:231
	v_add_co_u32_e32 v1, vcc, v3, v1
	v_addc_co_u32_e32 v0, vcc, v0, v2, vcc
	v_lshlrev_b64 v[2:3], 2, v[5:6]
	v_add_u32_e32 v4, 0x700, v9
	v_add_co_u32_e32 v2, vcc, v1, v2
	v_addc_co_u32_e32 v3, vcc, v0, v3, vcc
	s_waitcnt lgkmcnt(0)
	global_store_dword v[2:3], v7, off
	v_add_u32_e32 v2, 0xe7, v5
	v_mov_b32_e32 v3, v6
	v_lshlrev_b64 v[2:3], 2, v[2:3]
	s_movk_i32 s0, 0xe6
	v_add_co_u32_e32 v2, vcc, v1, v2
	v_addc_co_u32_e32 v3, vcc, v0, v3, vcc
	global_store_dword v[2:3], v8, off
	v_add_u32_e32 v2, 0x1ce, v5
	v_mov_b32_e32 v3, v6
	ds_read2_b32 v[7:8], v4 offset0:14 offset1:245
	v_lshlrev_b64 v[2:3], 2, v[2:3]
	v_add_u32_e32 v4, 0xe40, v9
	v_add_co_u32_e32 v2, vcc, v1, v2
	v_addc_co_u32_e32 v3, vcc, v0, v3, vcc
	s_waitcnt lgkmcnt(0)
	global_store_dword v[2:3], v7, off
	v_add_u32_e32 v2, 0x2b5, v5
	v_mov_b32_e32 v3, v6
	v_lshlrev_b64 v[2:3], 2, v[2:3]
	v_add_co_u32_e32 v2, vcc, v1, v2
	v_addc_co_u32_e32 v3, vcc, v0, v3, vcc
	global_store_dword v[2:3], v8, off
	v_add_u32_e32 v2, 0x39c, v5
	v_mov_b32_e32 v3, v6
	ds_read2_b32 v[7:8], v4 offset0:12 offset1:243
	v_lshlrev_b64 v[2:3], 2, v[2:3]
	v_add_u32_e32 v4, 0x1580, v9
	v_add_co_u32_e32 v2, vcc, v1, v2
	v_addc_co_u32_e32 v3, vcc, v0, v3, vcc
	s_waitcnt lgkmcnt(0)
	global_store_dword v[2:3], v7, off
	v_add_u32_e32 v2, 0x483, v5
	v_mov_b32_e32 v3, v6
	v_lshlrev_b64 v[2:3], 2, v[2:3]
	v_add_co_u32_e32 v2, vcc, v1, v2
	v_addc_co_u32_e32 v3, vcc, v0, v3, vcc
	global_store_dword v[2:3], v8, off
	v_add_u32_e32 v2, 0x56a, v5
	v_mov_b32_e32 v3, v6
	ds_read2_b32 v[7:8], v4 offset0:10 offset1:241
	v_lshlrev_b64 v[2:3], 2, v[2:3]
	v_add_co_u32_e32 v2, vcc, v1, v2
	v_addc_co_u32_e32 v3, vcc, v0, v3, vcc
	s_waitcnt lgkmcnt(0)
	global_store_dword v[2:3], v7, off
	v_add_u32_e32 v2, 0x651, v5
	v_mov_b32_e32 v3, v6
	v_lshlrev_b64 v[2:3], 2, v[2:3]
	v_add_co_u32_e32 v2, vcc, v1, v2
	v_addc_co_u32_e32 v3, vcc, v0, v3, vcc
	v_cmp_eq_u32_e32 vcc, s0, v5
	global_store_dword v[2:3], v8, off
	s_and_b64 exec, exec, vcc
	s_cbranch_execz .LBB0_30
; %bb.29:
	ds_read_b32 v3, v6 offset:7392
	v_add_co_u32_e32 v1, vcc, 0x1000, v1
	v_addc_co_u32_e32 v2, vcc, 0, v0, vcc
	s_waitcnt lgkmcnt(0)
	global_store_dword v[1:2], v3, off offset:3296
.LBB0_30:
	s_endpgm
	.section	.rodata,"a",@progbits
	.p2align	6, 0x0
	.amdhsa_kernel fft_rtc_back_len1848_factors_3_11_7_4_2_wgs_231_tpt_231_halfLds_half_op_CI_CI_unitstride_sbrr_R2C_dirReg
		.amdhsa_group_segment_fixed_size 0
		.amdhsa_private_segment_fixed_size 0
		.amdhsa_kernarg_size 104
		.amdhsa_user_sgpr_count 6
		.amdhsa_user_sgpr_private_segment_buffer 1
		.amdhsa_user_sgpr_dispatch_ptr 0
		.amdhsa_user_sgpr_queue_ptr 0
		.amdhsa_user_sgpr_kernarg_segment_ptr 1
		.amdhsa_user_sgpr_dispatch_id 0
		.amdhsa_user_sgpr_flat_scratch_init 0
		.amdhsa_user_sgpr_private_segment_size 0
		.amdhsa_uses_dynamic_stack 0
		.amdhsa_system_sgpr_private_segment_wavefront_offset 0
		.amdhsa_system_sgpr_workgroup_id_x 1
		.amdhsa_system_sgpr_workgroup_id_y 0
		.amdhsa_system_sgpr_workgroup_id_z 0
		.amdhsa_system_sgpr_workgroup_info 0
		.amdhsa_system_vgpr_workitem_id 0
		.amdhsa_next_free_vgpr 124
		.amdhsa_next_free_sgpr 28
		.amdhsa_reserve_vcc 1
		.amdhsa_reserve_flat_scratch 0
		.amdhsa_float_round_mode_32 0
		.amdhsa_float_round_mode_16_64 0
		.amdhsa_float_denorm_mode_32 3
		.amdhsa_float_denorm_mode_16_64 3
		.amdhsa_dx10_clamp 1
		.amdhsa_ieee_mode 1
		.amdhsa_fp16_overflow 0
		.amdhsa_exception_fp_ieee_invalid_op 0
		.amdhsa_exception_fp_denorm_src 0
		.amdhsa_exception_fp_ieee_div_zero 0
		.amdhsa_exception_fp_ieee_overflow 0
		.amdhsa_exception_fp_ieee_underflow 0
		.amdhsa_exception_fp_ieee_inexact 0
		.amdhsa_exception_int_div_zero 0
	.end_amdhsa_kernel
	.text
.Lfunc_end0:
	.size	fft_rtc_back_len1848_factors_3_11_7_4_2_wgs_231_tpt_231_halfLds_half_op_CI_CI_unitstride_sbrr_R2C_dirReg, .Lfunc_end0-fft_rtc_back_len1848_factors_3_11_7_4_2_wgs_231_tpt_231_halfLds_half_op_CI_CI_unitstride_sbrr_R2C_dirReg
                                        ; -- End function
	.section	.AMDGPU.csdata,"",@progbits
; Kernel info:
; codeLenInByte = 9140
; NumSgprs: 32
; NumVgprs: 124
; ScratchSize: 0
; MemoryBound: 0
; FloatMode: 240
; IeeeMode: 1
; LDSByteSize: 0 bytes/workgroup (compile time only)
; SGPRBlocks: 3
; VGPRBlocks: 30
; NumSGPRsForWavesPerEU: 32
; NumVGPRsForWavesPerEU: 124
; Occupancy: 2
; WaveLimiterHint : 1
; COMPUTE_PGM_RSRC2:SCRATCH_EN: 0
; COMPUTE_PGM_RSRC2:USER_SGPR: 6
; COMPUTE_PGM_RSRC2:TRAP_HANDLER: 0
; COMPUTE_PGM_RSRC2:TGID_X_EN: 1
; COMPUTE_PGM_RSRC2:TGID_Y_EN: 0
; COMPUTE_PGM_RSRC2:TGID_Z_EN: 0
; COMPUTE_PGM_RSRC2:TIDIG_COMP_CNT: 0
	.type	__hip_cuid_b7d397d1efed4fbc,@object ; @__hip_cuid_b7d397d1efed4fbc
	.section	.bss,"aw",@nobits
	.globl	__hip_cuid_b7d397d1efed4fbc
__hip_cuid_b7d397d1efed4fbc:
	.byte	0                               ; 0x0
	.size	__hip_cuid_b7d397d1efed4fbc, 1

	.ident	"AMD clang version 19.0.0git (https://github.com/RadeonOpenCompute/llvm-project roc-6.4.0 25133 c7fe45cf4b819c5991fe208aaa96edf142730f1d)"
	.section	".note.GNU-stack","",@progbits
	.addrsig
	.addrsig_sym __hip_cuid_b7d397d1efed4fbc
	.amdgpu_metadata
---
amdhsa.kernels:
  - .args:
      - .actual_access:  read_only
        .address_space:  global
        .offset:         0
        .size:           8
        .value_kind:     global_buffer
      - .offset:         8
        .size:           8
        .value_kind:     by_value
      - .actual_access:  read_only
        .address_space:  global
        .offset:         16
        .size:           8
        .value_kind:     global_buffer
      - .actual_access:  read_only
        .address_space:  global
        .offset:         24
        .size:           8
        .value_kind:     global_buffer
      - .actual_access:  read_only
        .address_space:  global
        .offset:         32
        .size:           8
        .value_kind:     global_buffer
      - .offset:         40
        .size:           8
        .value_kind:     by_value
      - .actual_access:  read_only
        .address_space:  global
        .offset:         48
        .size:           8
        .value_kind:     global_buffer
      - .actual_access:  read_only
        .address_space:  global
        .offset:         56
        .size:           8
        .value_kind:     global_buffer
      - .offset:         64
        .size:           4
        .value_kind:     by_value
      - .actual_access:  read_only
        .address_space:  global
        .offset:         72
        .size:           8
        .value_kind:     global_buffer
      - .actual_access:  read_only
        .address_space:  global
        .offset:         80
        .size:           8
        .value_kind:     global_buffer
      - .actual_access:  read_only
        .address_space:  global
        .offset:         88
        .size:           8
        .value_kind:     global_buffer
      - .actual_access:  write_only
        .address_space:  global
        .offset:         96
        .size:           8
        .value_kind:     global_buffer
    .group_segment_fixed_size: 0
    .kernarg_segment_align: 8
    .kernarg_segment_size: 104
    .language:       OpenCL C
    .language_version:
      - 2
      - 0
    .max_flat_workgroup_size: 231
    .name:           fft_rtc_back_len1848_factors_3_11_7_4_2_wgs_231_tpt_231_halfLds_half_op_CI_CI_unitstride_sbrr_R2C_dirReg
    .private_segment_fixed_size: 0
    .sgpr_count:     32
    .sgpr_spill_count: 0
    .symbol:         fft_rtc_back_len1848_factors_3_11_7_4_2_wgs_231_tpt_231_halfLds_half_op_CI_CI_unitstride_sbrr_R2C_dirReg.kd
    .uniform_work_group_size: 1
    .uses_dynamic_stack: false
    .vgpr_count:     124
    .vgpr_spill_count: 0
    .wavefront_size: 64
amdhsa.target:   amdgcn-amd-amdhsa--gfx906
amdhsa.version:
  - 1
  - 2
...

	.end_amdgpu_metadata
